;; amdgpu-corpus repo=ROCm/rocFFT kind=compiled arch=gfx906 opt=O3
	.text
	.amdgcn_target "amdgcn-amd-amdhsa--gfx906"
	.amdhsa_code_object_version 6
	.protected	fft_rtc_back_len1690_factors_13_10_13_wgs_169_tpt_169_half_ip_CI_sbrr_dirReg ; -- Begin function fft_rtc_back_len1690_factors_13_10_13_wgs_169_tpt_169_half_ip_CI_sbrr_dirReg
	.globl	fft_rtc_back_len1690_factors_13_10_13_wgs_169_tpt_169_half_ip_CI_sbrr_dirReg
	.p2align	8
	.type	fft_rtc_back_len1690_factors_13_10_13_wgs_169_tpt_169_half_ip_CI_sbrr_dirReg,@function
fft_rtc_back_len1690_factors_13_10_13_wgs_169_tpt_169_half_ip_CI_sbrr_dirReg: ; @fft_rtc_back_len1690_factors_13_10_13_wgs_169_tpt_169_half_ip_CI_sbrr_dirReg
; %bb.0:
	s_load_dwordx2 s[14:15], s[4:5], 0x18
	s_load_dwordx4 s[8:11], s[4:5], 0x0
	s_load_dwordx2 s[12:13], s[4:5], 0x50
	v_mul_u32_u24_e32 v1, 0x184, v0
	v_add_u32_sdwa v5, s6, v1 dst_sel:DWORD dst_unused:UNUSED_PAD src0_sel:DWORD src1_sel:WORD_1
	s_waitcnt lgkmcnt(0)
	s_load_dwordx2 s[2:3], s[14:15], 0x0
	v_cmp_lt_u64_e64 s[0:1], s[10:11], 2
	v_mov_b32_e32 v3, 0
	v_mov_b32_e32 v1, 0
	;; [unrolled: 1-line block ×3, first 2 shown]
	s_and_b64 vcc, exec, s[0:1]
	v_mov_b32_e32 v2, 0
	s_cbranch_vccnz .LBB0_8
; %bb.1:
	s_load_dwordx2 s[0:1], s[4:5], 0x10
	s_add_u32 s6, s14, 8
	s_addc_u32 s7, s15, 0
	v_mov_b32_e32 v1, 0
	v_mov_b32_e32 v2, 0
	s_waitcnt lgkmcnt(0)
	s_add_u32 s16, s0, 8
	s_addc_u32 s17, s1, 0
	s_mov_b64 s[18:19], 1
.LBB0_2:                                ; =>This Inner Loop Header: Depth=1
	s_load_dwordx2 s[20:21], s[16:17], 0x0
                                        ; implicit-def: $vgpr7_vgpr8
	s_waitcnt lgkmcnt(0)
	v_or_b32_e32 v4, s21, v6
	v_cmp_ne_u64_e32 vcc, 0, v[3:4]
	s_and_saveexec_b64 s[0:1], vcc
	s_xor_b64 s[22:23], exec, s[0:1]
	s_cbranch_execz .LBB0_4
; %bb.3:                                ;   in Loop: Header=BB0_2 Depth=1
	v_cvt_f32_u32_e32 v4, s20
	v_cvt_f32_u32_e32 v7, s21
	s_sub_u32 s0, 0, s20
	s_subb_u32 s1, 0, s21
	v_mac_f32_e32 v4, 0x4f800000, v7
	v_rcp_f32_e32 v4, v4
	v_mul_f32_e32 v4, 0x5f7ffffc, v4
	v_mul_f32_e32 v7, 0x2f800000, v4
	v_trunc_f32_e32 v7, v7
	v_mac_f32_e32 v4, 0xcf800000, v7
	v_cvt_u32_f32_e32 v7, v7
	v_cvt_u32_f32_e32 v4, v4
	v_mul_lo_u32 v8, s0, v7
	v_mul_hi_u32 v9, s0, v4
	v_mul_lo_u32 v11, s1, v4
	v_mul_lo_u32 v10, s0, v4
	v_add_u32_e32 v8, v9, v8
	v_add_u32_e32 v8, v8, v11
	v_mul_hi_u32 v9, v4, v10
	v_mul_lo_u32 v11, v4, v8
	v_mul_hi_u32 v13, v4, v8
	v_mul_hi_u32 v12, v7, v10
	v_mul_lo_u32 v10, v7, v10
	v_mul_hi_u32 v14, v7, v8
	v_add_co_u32_e32 v9, vcc, v9, v11
	v_addc_co_u32_e32 v11, vcc, 0, v13, vcc
	v_mul_lo_u32 v8, v7, v8
	v_add_co_u32_e32 v9, vcc, v9, v10
	v_addc_co_u32_e32 v9, vcc, v11, v12, vcc
	v_addc_co_u32_e32 v10, vcc, 0, v14, vcc
	v_add_co_u32_e32 v8, vcc, v9, v8
	v_addc_co_u32_e32 v9, vcc, 0, v10, vcc
	v_add_co_u32_e32 v4, vcc, v4, v8
	v_addc_co_u32_e32 v7, vcc, v7, v9, vcc
	v_mul_lo_u32 v8, s0, v7
	v_mul_hi_u32 v9, s0, v4
	v_mul_lo_u32 v10, s1, v4
	v_mul_lo_u32 v11, s0, v4
	v_add_u32_e32 v8, v9, v8
	v_add_u32_e32 v8, v8, v10
	v_mul_lo_u32 v12, v4, v8
	v_mul_hi_u32 v13, v4, v11
	v_mul_hi_u32 v14, v4, v8
	;; [unrolled: 1-line block ×3, first 2 shown]
	v_mul_lo_u32 v11, v7, v11
	v_mul_hi_u32 v9, v7, v8
	v_add_co_u32_e32 v12, vcc, v13, v12
	v_addc_co_u32_e32 v13, vcc, 0, v14, vcc
	v_mul_lo_u32 v8, v7, v8
	v_add_co_u32_e32 v11, vcc, v12, v11
	v_addc_co_u32_e32 v10, vcc, v13, v10, vcc
	v_addc_co_u32_e32 v9, vcc, 0, v9, vcc
	v_add_co_u32_e32 v8, vcc, v10, v8
	v_addc_co_u32_e32 v9, vcc, 0, v9, vcc
	v_add_co_u32_e32 v4, vcc, v4, v8
	v_addc_co_u32_e32 v9, vcc, v7, v9, vcc
	v_mad_u64_u32 v[7:8], s[0:1], v5, v9, 0
	v_mul_hi_u32 v10, v5, v4
	v_add_co_u32_e32 v11, vcc, v10, v7
	v_addc_co_u32_e32 v12, vcc, 0, v8, vcc
	v_mad_u64_u32 v[7:8], s[0:1], v6, v4, 0
	v_mad_u64_u32 v[9:10], s[0:1], v6, v9, 0
	v_add_co_u32_e32 v4, vcc, v11, v7
	v_addc_co_u32_e32 v4, vcc, v12, v8, vcc
	v_addc_co_u32_e32 v7, vcc, 0, v10, vcc
	v_add_co_u32_e32 v4, vcc, v4, v9
	v_addc_co_u32_e32 v9, vcc, 0, v7, vcc
	v_mul_lo_u32 v10, s21, v4
	v_mul_lo_u32 v11, s20, v9
	v_mad_u64_u32 v[7:8], s[0:1], s20, v4, 0
	v_add3_u32 v8, v8, v11, v10
	v_sub_u32_e32 v10, v6, v8
	v_mov_b32_e32 v11, s21
	v_sub_co_u32_e32 v7, vcc, v5, v7
	v_subb_co_u32_e64 v10, s[0:1], v10, v11, vcc
	v_subrev_co_u32_e64 v11, s[0:1], s20, v7
	v_subbrev_co_u32_e64 v10, s[0:1], 0, v10, s[0:1]
	v_cmp_le_u32_e64 s[0:1], s21, v10
	v_cndmask_b32_e64 v12, 0, -1, s[0:1]
	v_cmp_le_u32_e64 s[0:1], s20, v11
	v_cndmask_b32_e64 v11, 0, -1, s[0:1]
	v_cmp_eq_u32_e64 s[0:1], s21, v10
	v_cndmask_b32_e64 v10, v12, v11, s[0:1]
	v_add_co_u32_e64 v11, s[0:1], 2, v4
	v_addc_co_u32_e64 v12, s[0:1], 0, v9, s[0:1]
	v_add_co_u32_e64 v13, s[0:1], 1, v4
	v_addc_co_u32_e64 v14, s[0:1], 0, v9, s[0:1]
	v_subb_co_u32_e32 v8, vcc, v6, v8, vcc
	v_cmp_ne_u32_e64 s[0:1], 0, v10
	v_cmp_le_u32_e32 vcc, s21, v8
	v_cndmask_b32_e64 v10, v14, v12, s[0:1]
	v_cndmask_b32_e64 v12, 0, -1, vcc
	v_cmp_le_u32_e32 vcc, s20, v7
	v_cndmask_b32_e64 v7, 0, -1, vcc
	v_cmp_eq_u32_e32 vcc, s21, v8
	v_cndmask_b32_e32 v7, v12, v7, vcc
	v_cmp_ne_u32_e32 vcc, 0, v7
	v_cndmask_b32_e64 v7, v13, v11, s[0:1]
	v_cndmask_b32_e32 v8, v9, v10, vcc
	v_cndmask_b32_e32 v7, v4, v7, vcc
.LBB0_4:                                ;   in Loop: Header=BB0_2 Depth=1
	s_andn2_saveexec_b64 s[0:1], s[22:23]
	s_cbranch_execz .LBB0_6
; %bb.5:                                ;   in Loop: Header=BB0_2 Depth=1
	v_cvt_f32_u32_e32 v4, s20
	s_sub_i32 s22, 0, s20
	v_rcp_iflag_f32_e32 v4, v4
	v_mul_f32_e32 v4, 0x4f7ffffe, v4
	v_cvt_u32_f32_e32 v4, v4
	v_mul_lo_u32 v7, s22, v4
	v_mul_hi_u32 v7, v4, v7
	v_add_u32_e32 v4, v4, v7
	v_mul_hi_u32 v4, v5, v4
	v_mul_lo_u32 v7, v4, s20
	v_add_u32_e32 v8, 1, v4
	v_sub_u32_e32 v7, v5, v7
	v_subrev_u32_e32 v9, s20, v7
	v_cmp_le_u32_e32 vcc, s20, v7
	v_cndmask_b32_e32 v7, v7, v9, vcc
	v_cndmask_b32_e32 v4, v4, v8, vcc
	v_add_u32_e32 v8, 1, v4
	v_cmp_le_u32_e32 vcc, s20, v7
	v_cndmask_b32_e32 v7, v4, v8, vcc
	v_mov_b32_e32 v8, v3
.LBB0_6:                                ;   in Loop: Header=BB0_2 Depth=1
	s_or_b64 exec, exec, s[0:1]
	v_mul_lo_u32 v4, v8, s20
	v_mul_lo_u32 v11, v7, s21
	v_mad_u64_u32 v[9:10], s[0:1], v7, s20, 0
	s_load_dwordx2 s[0:1], s[6:7], 0x0
	s_add_u32 s18, s18, 1
	v_add3_u32 v4, v10, v11, v4
	v_sub_co_u32_e32 v5, vcc, v5, v9
	v_subb_co_u32_e32 v4, vcc, v6, v4, vcc
	s_waitcnt lgkmcnt(0)
	v_mul_lo_u32 v4, s0, v4
	v_mul_lo_u32 v6, s1, v5
	v_mad_u64_u32 v[1:2], s[0:1], s0, v5, v[1:2]
	s_addc_u32 s19, s19, 0
	s_add_u32 s6, s6, 8
	v_add3_u32 v2, v6, v2, v4
	v_mov_b32_e32 v4, s10
	v_mov_b32_e32 v5, s11
	s_addc_u32 s7, s7, 0
	v_cmp_ge_u64_e32 vcc, s[18:19], v[4:5]
	s_add_u32 s16, s16, 8
	s_addc_u32 s17, s17, 0
	s_cbranch_vccnz .LBB0_9
; %bb.7:                                ;   in Loop: Header=BB0_2 Depth=1
	v_mov_b32_e32 v5, v7
	v_mov_b32_e32 v6, v8
	s_branch .LBB0_2
.LBB0_8:
	v_mov_b32_e32 v8, v6
	v_mov_b32_e32 v7, v5
.LBB0_9:
	s_lshl_b64 s[0:1], s[10:11], 3
	s_add_u32 s0, s14, s0
	s_addc_u32 s1, s15, s1
	s_load_dwordx2 s[6:7], s[0:1], 0x0
	s_load_dwordx2 s[10:11], s[4:5], 0x20
	s_movk_i32 s4, 0x82
                                        ; implicit-def: $vgpr6
                                        ; implicit-def: $vgpr9
                                        ; implicit-def: $vgpr10
                                        ; implicit-def: $vgpr11
                                        ; implicit-def: $vgpr12
                                        ; implicit-def: $vgpr13
                                        ; implicit-def: $vgpr19
                                        ; implicit-def: $vgpr20
                                        ; implicit-def: $vgpr21
	s_waitcnt lgkmcnt(0)
	v_mad_u64_u32 v[1:2], s[0:1], s6, v7, v[1:2]
	s_mov_b32 s0, 0x183c978
	v_mul_lo_u32 v3, s6, v8
	v_mul_lo_u32 v4, s7, v7
	v_mul_hi_u32 v5, v0, s0
	v_cmp_gt_u64_e64 s[0:1], s[10:11], v[7:8]
                                        ; implicit-def: $vgpr7
                                        ; implicit-def: $vgpr8
	v_add3_u32 v2, v4, v2, v3
	v_mul_u32_u24_e32 v3, 0xa9, v5
	v_sub_u32_e32 v14, v0, v3
	v_cmp_gt_u32_e32 vcc, s4, v14
	v_lshlrev_b64 v[0:1], 2, v[1:2]
	s_and_b64 s[4:5], s[0:1], vcc
	v_mov_b32_e32 v4, 0
                                        ; implicit-def: $vgpr5
	s_and_saveexec_b64 s[6:7], s[4:5]
	s_cbranch_execz .LBB0_11
; %bb.10:
	v_mad_u64_u32 v[2:3], s[0:1], s2, v14, 0
	v_add_u32_e32 v7, 0x82, v14
	v_mov_b32_e32 v6, s13
	v_mad_u64_u32 v[3:4], s[0:1], s3, v14, v[3:4]
	v_mad_u64_u32 v[4:5], s[0:1], s2, v7, 0
	v_add_co_u32_e64 v12, s[0:1], s12, v0
	v_addc_co_u32_e64 v13, s[0:1], v6, v1, s[0:1]
	v_mad_u64_u32 v[5:6], s[0:1], s3, v7, v[5:6]
	v_add_u32_e32 v8, 0x104, v14
	v_mad_u64_u32 v[6:7], s[0:1], s2, v8, 0
	v_lshlrev_b64 v[2:3], 2, v[2:3]
	v_add_u32_e32 v10, 0x186, v14
	v_add_co_u32_e64 v2, s[0:1], v12, v2
	v_addc_co_u32_e64 v3, s[0:1], v13, v3, s[0:1]
	v_mad_u64_u32 v[7:8], s[0:1], s3, v8, v[7:8]
	v_mad_u64_u32 v[8:9], s[0:1], s2, v10, 0
	v_lshlrev_b64 v[4:5], 2, v[4:5]
	v_add_co_u32_e64 v15, s[0:1], v12, v4
	v_addc_co_u32_e64 v16, s[0:1], v13, v5, s[0:1]
	v_lshlrev_b64 v[4:5], 2, v[6:7]
	v_mov_b32_e32 v6, v9
	v_mad_u64_u32 v[6:7], s[0:1], s3, v10, v[6:7]
	v_add_u32_e32 v7, 0x208, v14
	v_mad_u64_u32 v[10:11], s[0:1], s2, v7, 0
	v_add_co_u32_e64 v17, s[0:1], v12, v4
	v_mov_b32_e32 v9, v6
	v_mov_b32_e32 v6, v11
	v_addc_co_u32_e64 v18, s[0:1], v13, v5, s[0:1]
	v_lshlrev_b64 v[4:5], 2, v[8:9]
	v_mad_u64_u32 v[6:7], s[0:1], s3, v7, v[6:7]
	v_add_u32_e32 v9, 0x28a, v14
	v_mad_u64_u32 v[7:8], s[0:1], s2, v9, 0
	v_add_co_u32_e64 v22, s[0:1], v12, v4
	v_mov_b32_e32 v11, v6
	v_mov_b32_e32 v6, v8
	v_addc_co_u32_e64 v23, s[0:1], v13, v5, s[0:1]
	v_lshlrev_b64 v[4:5], 2, v[10:11]
	v_mad_u64_u32 v[8:9], s[0:1], s3, v9, v[6:7]
	v_add_u32_e32 v11, 0x30c, v14
	v_mad_u64_u32 v[9:10], s[0:1], s2, v11, 0
	v_add_co_u32_e64 v24, s[0:1], v12, v4
	v_mov_b32_e32 v6, v10
	v_addc_co_u32_e64 v25, s[0:1], v13, v5, s[0:1]
	v_lshlrev_b64 v[4:5], 2, v[7:8]
	v_mad_u64_u32 v[6:7], s[0:1], s3, v11, v[6:7]
	v_add_u32_e32 v11, 0x38e, v14
	v_mad_u64_u32 v[7:8], s[0:1], s2, v11, 0
	v_add_co_u32_e64 v26, s[0:1], v12, v4
	v_mov_b32_e32 v10, v6
	v_mov_b32_e32 v6, v8
	v_addc_co_u32_e64 v27, s[0:1], v13, v5, s[0:1]
	v_lshlrev_b64 v[4:5], 2, v[9:10]
	v_mad_u64_u32 v[8:9], s[0:1], s3, v11, v[6:7]
	v_add_u32_e32 v11, 0x410, v14
	v_mad_u64_u32 v[9:10], s[0:1], s2, v11, 0
	v_add_co_u32_e64 v28, s[0:1], v12, v4
	;; [unrolled: 15-line block ×4, first 2 shown]
	v_mov_b32_e32 v6, v10
	v_addc_co_u32_e64 v37, s[0:1], v13, v5, s[0:1]
	v_lshlrev_b64 v[4:5], 2, v[7:8]
	v_mad_u64_u32 v[6:7], s[0:1], s3, v11, v[6:7]
	v_add_co_u32_e64 v38, s[0:1], v12, v4
	v_mov_b32_e32 v10, v6
	v_addc_co_u32_e64 v39, s[0:1], v13, v5, s[0:1]
	v_lshlrev_b64 v[4:5], 2, v[9:10]
	v_add_co_u32_e64 v40, s[0:1], v12, v4
	v_addc_co_u32_e64 v41, s[0:1], v13, v5, s[0:1]
	global_load_dword v4, v[2:3], off
	global_load_dword v5, v[15:16], off
	;; [unrolled: 1-line block ×13, first 2 shown]
.LBB0_11:
	s_or_b64 exec, exec, s[6:7]
	s_waitcnt vmcnt(0)
	v_pk_add_f16 v46, v5, v6 neg_lo:[0,1] neg_hi:[0,1]
	v_lshrrev_b32_e32 v26, 16, v46
	v_pk_add_f16 v49, v7, v8 neg_lo:[0,1] neg_hi:[0,1]
	v_pk_add_f16 v22, v5, v6
	s_movk_i32 s6, 0x388b
	v_mul_f16_e32 v34, 0xba95, v26
	v_lshrrev_b32_e32 v28, 16, v49
	v_fma_f16 v2, v22, s6, -v34
	s_movk_i32 s7, 0x2fb7
	v_mul_f16_e32 v41, 0xbbf1, v26
	v_pk_add_f16 v23, v7, v8
	s_mov_b32 s10, 0xb5ac
	v_mul_f16_e32 v37, 0xbb7b, v28
	v_pk_add_f16 v55, v9, v10 neg_lo:[0,1] neg_hi:[0,1]
	v_add_f16_e32 v2, v4, v2
	v_fma_f16 v3, v22, s7, -v41
	v_fma_f16 v15, v23, s10, -v37
	s_mov_b32 s11, 0xbbc4
	v_mul_f16_e32 v45, 0xb3a8, v28
	v_lshrrev_b32_e32 v30, 16, v55
	v_add_f16_e32 v3, v4, v3
	v_add_f16_e32 v2, v2, v15
	v_fma_f16 v15, v23, s11, -v45
	v_pk_add_f16 v24, v9, v10
	v_mul_f16_e32 v40, 0xb3a8, v30
	v_pk_add_f16 v61, v11, v12 neg_lo:[0,1] neg_hi:[0,1]
	v_add_f16_e32 v3, v3, v15
	v_fma_f16 v15, v24, s11, -v40
	v_mul_f16_e32 v47, 0x3b7b, v30
	v_lshrrev_b32_e32 v31, 16, v61
	v_add_f16_e32 v2, v2, v15
	v_fma_f16 v15, v24, s10, -v47
	v_pk_add_f16 v25, v11, v12
	s_mov_b32 s14, 0xb9fd
	v_mul_f16_e32 v44, 0x394e, v31
	v_pk_add_f16 v67, v13, v19 neg_lo:[0,1] neg_hi:[0,1]
	v_add_f16_e32 v3, v3, v15
	v_fma_f16 v15, v25, s14, -v44
	s_movk_i32 s15, 0x3b15
	v_mul_f16_e32 v53, 0x3770, v31
	v_lshrrev_b32_e32 v32, 16, v67
	v_add_f16_e32 v2, v2, v15
	v_fma_f16 v15, v25, s15, -v53
	v_pk_add_f16 v27, v13, v19
	v_mul_f16_e32 v48, 0x3bf1, v32
	v_pk_add_f16 v72, v20, v21 neg_lo:[0,1] neg_hi:[0,1]
	v_add_f16_e32 v3, v3, v15
	v_fma_f16 v15, v27, s7, -v48
	v_mul_f16_e32 v59, 0xba95, v32
	v_lshrrev_b32_e32 v33, 16, v72
	v_add_f16_e32 v2, v2, v15
	v_fma_f16 v15, v27, s6, -v59
	v_pk_add_f16 v29, v20, v21
	v_mul_f16_e32 v52, 0x3770, v33
	v_add_f16_e32 v15, v3, v15
	v_fma_f16 v3, v29, s15, -v52
	v_mul_f16_e32 v65, 0xb94e, v33
	v_add_f16_e32 v3, v2, v3
	v_fma_f16 v2, v29, s14, -v65
	;; [unrolled: 3-line block ×4, first 2 shown]
	v_lshrrev_b32_e32 v35, 16, v22
	v_mul_f16_e32 v56, 0xb770, v46
	v_add_f16_e32 v15, v15, v16
	v_fma_f16 v16, v35, s15, v56
	v_lshrrev_b32_e32 v36, 16, v23
	v_mul_f16_e32 v57, 0xba95, v49
	v_add_f16_sdwa v16, v4, v16 dst_sel:DWORD dst_unused:UNUSED_PAD src0_sel:WORD_1 src1_sel:DWORD
	v_fma_f16 v17, v36, s6, v57
	v_mul_f16_e32 v68, 0xba95, v46
	v_add_f16_e32 v16, v16, v17
	v_fma_f16 v17, v35, s6, v68
	v_mul_f16_e32 v69, 0xbb7b, v49
	v_add_f16_sdwa v17, v4, v17 dst_sel:DWORD dst_unused:UNUSED_PAD src0_sel:WORD_1 src1_sel:DWORD
	v_fma_f16 v18, v36, s10, v69
	v_mul_f16_e32 v75, 0xbbf1, v46
	v_add_f16_e32 v17, v17, v18
	v_fma_f16 v18, v35, s7, v75
	v_mul_f16_e32 v76, 0xb3a8, v49
	v_add_f16_sdwa v18, v4, v18 dst_sel:DWORD dst_unused:UNUSED_PAD src0_sel:WORD_1 src1_sel:DWORD
	v_fma_f16 v38, v36, s11, v76
	v_mul_f16_e32 v54, 0xbbf1, v30
	v_add_f16_e32 v18, v18, v38
	v_fma_f16 v38, v24, s7, -v54
	v_add_f16_e32 v15, v15, v38
	v_lshrrev_b32_e32 v38, 16, v24
	v_mul_f16_e32 v62, 0xbbf1, v55
	v_fma_f16 v39, v38, s7, v62
	v_mul_f16_e32 v71, 0xb3a8, v55
	v_add_f16_e32 v16, v16, v39
	v_fma_f16 v39, v38, s11, v71
	v_mul_f16_e32 v78, 0x3b7b, v55
	v_add_f16_e32 v17, v17, v39
	v_fma_f16 v39, v38, s10, v78
	v_mul_f16_e32 v58, 0xbb7b, v31
	v_add_f16_e32 v18, v18, v39
	v_fma_f16 v39, v25, s10, -v58
	v_add_f16_e32 v15, v15, v39
	v_lshrrev_b32_e32 v39, 16, v25
	v_mul_f16_e32 v64, 0xbb7b, v61
	v_fma_f16 v42, v39, s10, v64
	v_mul_f16_e32 v73, 0x394e, v61
	v_add_f16_e32 v16, v16, v42
	v_fma_f16 v42, v39, s14, v73
	v_mul_f16_e32 v79, 0x3770, v61
	v_add_f16_e32 v17, v17, v42
	;; [unrolled: 13-line block ×3, first 2 shown]
	v_fma_f16 v43, v42, s6, v80
	v_mul_f16_e32 v63, 0xb3a8, v33
	v_add_f16_e32 v82, v18, v43
	v_fma_f16 v18, v29, s11, -v63
	v_lshrrev_b32_e32 v43, 16, v29
	v_mul_f16_e32 v70, 0xb3a8, v72
	v_add_f16_e32 v15, v15, v18
	v_fma_f16 v18, v43, s11, v70
	v_mul_f16_e32 v77, 0x3770, v72
	v_add_f16_e32 v18, v16, v18
	v_fma_f16 v16, v43, s15, v77
	v_mul_f16_e32 v81, 0xb94e, v72
	v_add_f16_e32 v17, v17, v16
	v_fma_f16 v16, v43, s14, v81
	v_add_f16_e32 v16, v82, v16
	s_mov_b32 s18, 0xba95
	s_mov_b32 s16, 0xbb7b
	;; [unrolled: 1-line block ×3, first 2 shown]
	s_movk_i32 s17, 0x3770
	s_mov_b32 s20, 0xb94e
	s_movk_i32 s19, 0x3bf1
	s_and_saveexec_b64 s[0:1], vcc
	s_cbranch_execz .LBB0_13
; %bb.12:
	v_pk_mul_f16 v84, v22, s11 op_sel_hi:[1,0]
	v_pk_mul_f16 v85, v46, s21 op_sel_hi:[1,0]
	;; [unrolled: 1-line block ×4, first 2 shown]
	v_add_f16_sdwa v84, v85, v84 dst_sel:DWORD dst_unused:UNUSED_PAD src0_sel:WORD_1 src1_sel:DWORD
	v_add_f16_sdwa v82, v83, v82 dst_sel:DWORD dst_unused:UNUSED_PAD src0_sel:WORD_1 src1_sel:DWORD
	v_add_f16_e32 v84, v4, v84
	v_add_f16_e32 v82, v84, v82
	v_pk_mul_f16 v84, v24, s14 op_sel_hi:[1,0]
	v_pk_mul_f16 v86, v55, s20 op_sel_hi:[1,0]
	v_add_f16_sdwa v84, v86, v84 dst_sel:DWORD dst_unused:UNUSED_PAD src0_sel:WORD_1 src1_sel:DWORD
	s_movk_i32 s21, 0x3a95
	v_add_f16_e32 v82, v82, v84
	v_pk_mul_f16 v84, v25, s6 op_sel_hi:[1,0]
	v_pk_mul_f16 v87, v61, s21 op_sel_hi:[1,0]
	v_add_f16_sdwa v84, v87, v84 dst_sel:DWORD dst_unused:UNUSED_PAD src0_sel:WORD_1 src1_sel:DWORD
	v_add_f16_e32 v82, v82, v84
	v_pk_mul_f16 v84, v27, s10 op_sel_hi:[1,0]
	v_pk_mul_f16 v88, v67, s16 op_sel_hi:[1,0]
	v_add_f16_sdwa v84, v88, v84 dst_sel:DWORD dst_unused:UNUSED_PAD src0_sel:WORD_1 src1_sel:DWORD
	;; [unrolled: 4-line block ×3, first 2 shown]
	v_add_f16_e32 v82, v82, v84
	v_mul_f16_e32 v84, 0xb94e, v46
	v_fma_f16 v90, v35, s14, -v84
	v_mul_f16_e32 v91, 0x3bf1, v49
	v_add_f16_sdwa v90, v4, v90 dst_sel:DWORD dst_unused:UNUSED_PAD src0_sel:WORD_1 src1_sel:DWORD
	v_fma_f16 v92, v36, s7, -v91
	v_add_f16_e32 v90, v90, v92
	v_mul_f16_e32 v92, 0xba95, v55
	v_fma_f16 v93, v38, s6, -v92
	v_add_f16_e32 v90, v90, v93
	v_mul_f16_e32 v93, 0x33a8, v61
	;; [unrolled: 3-line block ×5, first 2 shown]
	v_fma_f16 v97, v26, s20, v96
	v_mul_f16_e32 v98, 0x2fb7, v23
	v_add_f16_e32 v97, v4, v97
	v_fma_f16 v99, v28, s19, v98
	v_add_f16_e32 v97, v97, v99
	v_mul_f16_e32 v99, 0x388b, v24
	v_fma_f16 v100, v30, s18, v99
	v_add_f16_e32 v97, v97, v100
	s_movk_i32 s18, 0x33a8
	v_mul_f16_e32 v100, 0xbbc4, v25
	v_fma_f16 v101, v31, s18, v100
	v_add_f16_e32 v97, v97, v101
	v_mul_f16_e32 v101, 0x3b15, v27
	v_fma_f16 v102, v32, s17, v101
	v_add_f16_e32 v97, v97, v102
	v_mul_f16_e32 v102, 0xb5ac, v29
	v_fma_f16 v103, v33, s16, v102
	v_mul_f16_e32 v46, 0xbb7b, v46
	v_add_f16_e32 v97, v97, v103
	v_fma_f16 v103, v35, s10, -v46
	v_mul_f16_e32 v49, 0x394e, v49
	v_add_f16_sdwa v103, v4, v103 dst_sel:DWORD dst_unused:UNUSED_PAD src0_sel:WORD_1 src1_sel:DWORD
	v_fma_f16 v104, v36, s14, -v49
	v_mul_f16_e32 v55, 0x3770, v55
	v_add_f16_e32 v103, v103, v104
	v_fma_f16 v104, v38, s15, -v55
	v_mul_f16_e32 v61, 0xbbf1, v61
	v_add_f16_e32 v103, v103, v104
	;; [unrolled: 3-line block ×4, first 2 shown]
	v_fma_f16 v104, v43, s6, -v72
	v_add_f16_e32 v103, v103, v104
	v_mul_f16_e32 v104, 0x2fb7, v35
	v_sub_f16_e32 v75, v104, v75
	v_mul_f16_e32 v104, 0xbbc4, v36
	v_sub_f16_e32 v76, v104, v76
	;; [unrolled: 2-line block ×6, first 2 shown]
	v_mul_f16_e32 v104, 0x2fb7, v22
	v_add_f16_e32 v41, v41, v104
	v_mul_f16_e32 v104, 0xbbc4, v23
	v_add_f16_e32 v45, v45, v104
	v_add_f16_e32 v41, v4, v41
	;; [unrolled: 1-line block ×3, first 2 shown]
	v_mul_f16_e32 v45, 0xb5ac, v24
	v_add_f16_e32 v45, v47, v45
	v_add_f16_e32 v41, v41, v45
	v_mul_f16_e32 v45, 0x3b15, v25
	v_add_f16_e32 v45, v53, v45
	v_add_f16_e32 v41, v41, v45
	v_mul_f16_e32 v45, 0x388b, v27
	v_add_f16_e32 v45, v59, v45
	v_add_f16_e32 v41, v41, v45
	v_mul_f16_e32 v45, 0xb9fd, v29
	v_add_f16_e32 v45, v65, v45
	v_add_f16_e32 v41, v41, v45
	v_mul_f16_e32 v45, 0x388b, v35
	v_sub_f16_e32 v45, v45, v68
	v_mul_f16_e32 v47, 0xb5ac, v36
	v_sub_f16_e32 v47, v47, v69
	v_add_f16_sdwa v45, v4, v45 dst_sel:DWORD dst_unused:UNUSED_PAD src0_sel:WORD_1 src1_sel:DWORD
	v_add_f16_e32 v45, v45, v47
	v_mul_f16_e32 v47, 0xbbc4, v38
	v_sub_f16_e32 v47, v47, v71
	v_add_f16_e32 v45, v45, v47
	v_mul_f16_e32 v47, 0xb9fd, v39
	v_sub_f16_e32 v47, v47, v73
	;; [unrolled: 3-line block ×4, first 2 shown]
	v_add_f16_e32 v45, v45, v47
	v_mul_f16_e32 v47, 0x388b, v22
	v_add_f16_e32 v34, v34, v47
	v_mul_f16_e32 v47, 0xb5ac, v23
	v_add_f16_e32 v37, v37, v47
	v_add_f16_e32 v34, v4, v34
	;; [unrolled: 1-line block ×3, first 2 shown]
	v_mul_f16_e32 v37, 0xbbc4, v24
	v_add_f16_e32 v37, v40, v37
	v_add_f16_e32 v34, v34, v37
	v_mul_f16_e32 v37, 0xb9fd, v25
	v_add_f16_e32 v37, v44, v37
	v_add_f16_e32 v34, v34, v37
	;; [unrolled: 3-line block ×4, first 2 shown]
	v_mul_f16_e32 v37, 0x3b15, v35
	v_sub_f16_e32 v37, v37, v56
	v_mul_f16_e32 v40, 0x388b, v36
	v_sub_f16_e32 v40, v40, v57
	v_add_f16_sdwa v37, v4, v37 dst_sel:DWORD dst_unused:UNUSED_PAD src0_sel:WORD_1 src1_sel:DWORD
	v_add_f16_e32 v37, v37, v40
	v_mul_f16_e32 v40, 0x2fb7, v38
	v_sub_f16_e32 v40, v40, v62
	v_add_f16_e32 v37, v37, v40
	v_mul_f16_e32 v40, 0xb5ac, v39
	v_sub_f16_e32 v40, v40, v64
	;; [unrolled: 3-line block ×4, first 2 shown]
	v_add_f16_e32 v37, v37, v40
	v_mul_f16_e32 v40, 0x3b15, v22
	v_add_f16_e32 v40, v50, v40
	v_mul_f16_e32 v44, 0x388b, v23
	v_add_f16_e32 v44, v51, v44
	v_add_f16_e32 v40, v4, v40
	;; [unrolled: 1-line block ×3, first 2 shown]
	v_mul_f16_e32 v44, 0x2fb7, v24
	v_add_f16_e32 v44, v54, v44
	v_add_f16_e32 v40, v40, v44
	v_mul_f16_e32 v44, 0xb5ac, v25
	v_add_f16_e32 v44, v58, v44
	v_add_f16_e32 v40, v40, v44
	v_mul_f16_e32 v44, 0xb9fd, v27
	v_add_f16_e32 v44, v60, v44
	v_add_f16_e32 v40, v40, v44
	v_mul_f16_e32 v44, 0xbbc4, v29
	v_add_f16_e32 v44, v63, v44
	v_add_f16_e32 v40, v40, v44
	v_fma_f16 v44, v35, s14, v84
	v_add_f16_sdwa v44, v4, v44 dst_sel:DWORD dst_unused:UNUSED_PAD src0_sel:WORD_1 src1_sel:DWORD
	v_fma_f16 v47, v36, s7, v91
	v_add_f16_e32 v44, v44, v47
	v_fma_f16 v47, v38, s6, v92
	v_add_f16_e32 v44, v44, v47
	;; [unrolled: 2-line block ×5, first 2 shown]
	v_mul_f16_e32 v47, 0xb94e, v26
	v_pack_b32_f16 v47, v47, v85
	v_pk_add_f16 v47, v96, v47 neg_lo:[0,1] neg_hi:[0,1]
	v_pk_fma_f16 v48, v22, s11, v85 op_sel:[0,0,1] op_sel_hi:[1,0,0]
	s_mov_b32 s16, 0xffff
	v_bfi_b32 v47, s16, v47, v48
	v_mul_f16_e32 v48, 0x3bf1, v28
	v_pack_b32_f16 v48, v48, v83
	v_pk_add_f16 v48, v98, v48 neg_lo:[0,1] neg_hi:[0,1]
	v_pk_fma_f16 v50, v23, s15, v83 op_sel:[0,0,1] op_sel_hi:[1,0,0]
	v_bfi_b32 v48, s16, v48, v50
	v_mul_f16_e32 v50, 0xba95, v30
	v_pack_b32_f16 v50, v50, v86
	v_pk_add_f16 v5, v4, v5
	v_pk_add_f16 v50, v99, v50 neg_lo:[0,1] neg_hi:[0,1]
	v_pk_fma_f16 v51, v24, s14, v86 op_sel:[0,0,1] op_sel_hi:[1,0,0]
	v_pk_add_f16 v5, v5, v7
	v_bfi_b32 v50, s16, v50, v51
	v_mul_f16_e32 v51, 0x33a8, v31
	v_pk_add_f16 v5, v5, v9
	v_pack_b32_f16 v51, v51, v87
	v_pk_add_f16 v5, v5, v11
	v_pk_add_f16 v51, v100, v51 neg_lo:[0,1] neg_hi:[0,1]
	v_pk_fma_f16 v52, v25, s6, v87 op_sel:[0,0,1] op_sel_hi:[1,0,0]
	v_pk_add_f16 v5, v5, v13
	v_bfi_b32 v51, s16, v51, v52
	v_mul_f16_e32 v52, 0x3770, v32
	v_pk_add_f16 v5, v5, v20
	;; [unrolled: 8-line block ×3, first 2 shown]
	v_pack_b32_f16 v53, v53, v89
	v_pk_add_f16 v5, v10, v5
	v_mul_f16_e32 v26, 0xbb7b, v26
	v_pk_add_f16 v53, v102, v53 neg_lo:[0,1] neg_hi:[0,1]
	v_pk_fma_f16 v54, v29, s7, v89 op_sel:[0,0,1] op_sel_hi:[1,0,0]
	v_pk_add_f16 v5, v8, v5
	v_bfi_b32 v53, s16, v53, v54
	v_fma_f16 v54, v22, s10, v26
	v_mul_f16_e32 v28, 0x394e, v28
	v_pk_add_f16 v5, v6, v5
	v_mad_u32_u24 v8, v14, 52, 0
	v_pack_b32_f16 v6, v34, v45
	v_pack_b32_f16 v7, v40, v37
	v_fma_f16 v35, v35, s10, v46
	v_fma_f16 v46, v23, s14, v28
	v_mul_f16_e32 v30, 0x3770, v30
	ds_write2_b32 v8, v7, v6 offset0:1 offset1:2
	v_pack_b32_f16 v6, v54, v75
	v_fma_f16 v36, v36, s14, v49
	v_fma_f16 v49, v24, s15, v30
	v_mul_f16_e32 v31, 0xbbf1, v31
	v_add_f16_sdwa v35, v4, v35 dst_sel:DWORD dst_unused:UNUSED_PAD src0_sel:WORD_1 src1_sel:DWORD
	v_pk_add_f16 v6, v4, v6
	v_pack_b32_f16 v7, v46, v76
	v_add_f16_e32 v35, v35, v36
	v_fma_f16 v36, v25, s7, v31
	v_mul_f16_e32 v32, 0x33a8, v32
	v_pk_add_f16 v6, v6, v7
	v_pack_b32_f16 v7, v49, v78
	v_fma_f16 v38, v38, s15, v55
	v_fma_f16 v55, v27, s11, v32
	v_mul_f16_e32 v33, 0x3a95, v33
	v_pk_add_f16 v6, v6, v7
	v_pack_b32_f16 v7, v36, v79
	v_add_f16_e32 v35, v35, v38
	v_fma_f16 v38, v29, s6, v33
	v_pk_add_f16 v6, v6, v7
	v_pack_b32_f16 v7, v55, v80
	v_pk_add_f16 v6, v6, v7
	v_pack_b32_f16 v7, v38, v81
	v_pk_add_f16 v6, v6, v7
	v_bfi_b32 v7, s16, v41, v6
	v_pack_b32_f16 v6, v6, v103
	ds_write2_b32 v8, v7, v6 offset0:3 offset1:4
	v_pack_b32_f16 v6, v97, v90
	v_fma_f16 v26, v22, s10, -v26
	ds_write2_b32 v8, v5, v6 offset1:5
	ds_write_b16 v8, v82 offset:24
	v_pk_fma_f16 v5, v22, s11, v85 op_sel:[0,0,1] op_sel_hi:[1,0,0] neg_lo:[0,0,1] neg_hi:[0,0,1]
	v_add_f16_e32 v26, v4, v26
	v_fma_f16 v28, v23, s14, -v28
	v_pk_add_f16 v5, v4, v5
	v_pk_fma_f16 v6, v23, s15, v83 op_sel:[0,0,1] op_sel_hi:[1,0,0] neg_lo:[0,0,1] neg_hi:[0,0,1]
	v_pk_add_f16 v4, v4, v47
	v_add_f16_e32 v26, v26, v28
	v_fma_f16 v28, v24, s15, -v30
	v_pk_add_f16 v5, v5, v6
	v_pk_fma_f16 v6, v24, s14, v86 op_sel:[0,0,1] op_sel_hi:[1,0,0] neg_lo:[0,0,1] neg_hi:[0,0,1]
	v_pk_add_f16 v4, v4, v48
	v_fma_f16 v39, v39, s7, v61
	v_add_f16_e32 v26, v26, v28
	v_fma_f16 v28, v25, s7, -v31
	v_pk_add_f16 v5, v5, v6
	v_pk_fma_f16 v6, v25, s6, v87 op_sel:[0,0,1] op_sel_hi:[1,0,0] neg_lo:[0,0,1] neg_hi:[0,0,1]
	v_pk_add_f16 v4, v4, v50
	v_add_f16_e32 v35, v35, v39
	v_fma_f16 v39, v42, s11, v67
	v_add_f16_e32 v26, v26, v28
	v_fma_f16 v28, v27, s11, -v32
	v_pk_add_f16 v5, v5, v6
	v_pk_fma_f16 v6, v27, s10, v88 op_sel:[0,0,1] op_sel_hi:[1,0,0] neg_lo:[0,0,1] neg_hi:[0,0,1]
	v_pk_add_f16 v4, v4, v51
	v_add_f16_e32 v35, v35, v39
	;; [unrolled: 7-line block ×3, first 2 shown]
	v_add_f16_e32 v26, v26, v28
	v_pk_add_f16 v7, v5, v6
	v_pk_add_f16 v4, v4, v53
	s_mov_b32 s6, 0x5040100
	v_alignbit_b32 v5, v4, v4, 16
	v_pack_b32_f16 v6, v44, v26
	v_alignbit_b32 v4, v7, v7, 16
	v_perm_b32 v7, v2, v35, s6
	ds_write_b128 v8, v[4:7] offset:26
	v_perm_b32 v5, v15, v17, s6
	v_perm_b32 v4, v3, v16, s6
	ds_write_b64 v8, v[4:5] offset:42
	ds_write_b16 v8, v18 offset:50
.LBB0_13:
	s_or_b64 exec, exec, s[0:1]
	s_movk_i32 s0, 0x4f
	v_mul_lo_u16_sdwa v4, v14, s0 dst_sel:DWORD dst_unused:UNUSED_PAD src0_sel:BYTE_0 src1_sel:DWORD
	v_lshrrev_b16_e32 v33, 10, v4
	v_mul_lo_u16_e32 v4, 13, v33
	v_sub_u16_e32 v34, v14, v4
	v_mov_b32_e32 v4, 9
	v_mul_u32_u24_sdwa v4, v34, v4 dst_sel:DWORD dst_unused:UNUSED_PAD src0_sel:BYTE_0 src1_sel:DWORD
	v_lshlrev_b32_e32 v12, 2, v4
	s_waitcnt lgkmcnt(0)
	s_barrier
	global_load_dwordx4 v[4:7], v12, s[8:9]
	global_load_dwordx4 v[8:11], v12, s[8:9] offset:16
	global_load_dword v19, v12, s[8:9] offset:32
	v_lshl_add_u32 v20, v14, 2, 0
	ds_read2_b32 v[12:13], v20 offset1:169
	v_add_u32_e32 v28, 0x400, v20
	v_add_u32_e32 v25, 0xf00, v20
	;; [unrolled: 1-line block ×4, first 2 shown]
	ds_read2_b32 v[23:24], v28 offset0:82 offset1:251
	ds_read2_b32 v[25:26], v25 offset0:54 offset1:223
	;; [unrolled: 1-line block ×4, first 2 shown]
	s_waitcnt lgkmcnt(4)
	v_lshrrev_b32_e32 v27, 16, v13
	s_waitcnt lgkmcnt(3)
	v_lshrrev_b32_e32 v39, 16, v23
	;; [unrolled: 2-line block ×5, first 2 shown]
	v_lshrrev_b32_e32 v42, 16, v30
	v_lshrrev_b32_e32 v36, 16, v26
	;; [unrolled: 1-line block ×4, first 2 shown]
	s_mov_b32 s6, 0xbb9c
	s_movk_i32 s1, 0x3b9c
	s_mov_b32 s7, 0xb8b4
	s_movk_i32 s0, 0x38b4
	s_movk_i32 s10, 0x34f2
	v_lshrrev_b32_e32 v21, 16, v12
	s_waitcnt vmcnt(0)
	s_barrier
	v_mul_f16_sdwa v43, v4, v27 dst_sel:DWORD dst_unused:UNUSED_PAD src0_sel:WORD_1 src1_sel:DWORD
	v_mul_f16_sdwa v44, v4, v13 dst_sel:DWORD dst_unused:UNUSED_PAD src0_sel:WORD_1 src1_sel:DWORD
	;; [unrolled: 1-line block ×3, first 2 shown]
	v_mul_f16_sdwa v53, v35, v9 dst_sel:DWORD dst_unused:UNUSED_PAD src0_sel:DWORD src1_sel:WORD_1
	v_mul_f16_sdwa v45, v5, v39 dst_sel:DWORD dst_unused:UNUSED_PAD src0_sel:WORD_1 src1_sel:DWORD
	v_mul_f16_sdwa v46, v5, v23 dst_sel:DWORD dst_unused:UNUSED_PAD src0_sel:WORD_1 src1_sel:DWORD
	;; [unrolled: 1-line block ×3, first 2 shown]
	v_mul_f16_sdwa v54, v25, v9 dst_sel:DWORD dst_unused:UNUSED_PAD src0_sel:DWORD src1_sel:WORD_1
	v_mul_f16_sdwa v57, v37, v11 dst_sel:DWORD dst_unused:UNUSED_PAD src0_sel:DWORD src1_sel:WORD_1
	;; [unrolled: 1-line block ×3, first 2 shown]
	v_fma_f16 v13, v4, v13, v43
	v_fma_f16 v4, v4, v27, -v44
	v_fma_f16 v27, v7, v29, v49
	v_fma_f16 v25, v25, v9, v53
	v_mul_f16_sdwa v50, v7, v29 dst_sel:DWORD dst_unused:UNUSED_PAD src0_sel:WORD_1 src1_sel:DWORD
	v_mul_f16_sdwa v52, v8, v30 dst_sel:DWORD dst_unused:UNUSED_PAD src0_sel:WORD_1 src1_sel:DWORD
	v_mul_f16_sdwa v55, v36, v10 dst_sel:DWORD dst_unused:UNUSED_PAD src0_sel:DWORD src1_sel:WORD_1
	v_mul_f16_sdwa v56, v26, v10 dst_sel:DWORD dst_unused:UNUSED_PAD src0_sel:DWORD src1_sel:WORD_1
	v_mul_f16_sdwa v59, v38, v19 dst_sel:DWORD dst_unused:UNUSED_PAD src0_sel:DWORD src1_sel:WORD_1
	v_mul_f16_sdwa v60, v32, v19 dst_sel:DWORD dst_unused:UNUSED_PAD src0_sel:DWORD src1_sel:WORD_1
	v_fma_f16 v23, v5, v23, v45
	v_fma_f16 v5, v5, v39, -v46
	v_fma_f16 v29, v8, v30, v51
	v_fma_f16 v9, v35, v9, -v54
	;; [unrolled: 2-line block ×3, first 2 shown]
	v_add_f16_e32 v35, v27, v25
	v_mul_f16_sdwa v47, v6, v40 dst_sel:DWORD dst_unused:UNUSED_PAD src0_sel:WORD_1 src1_sel:DWORD
	v_mul_f16_sdwa v48, v6, v24 dst_sel:DWORD dst_unused:UNUSED_PAD src0_sel:WORD_1 src1_sel:DWORD
	v_fma_f16 v7, v7, v41, -v50
	v_fma_f16 v26, v26, v10, v55
	v_fma_f16 v10, v36, v10, -v56
	v_fma_f16 v31, v32, v19, v59
	v_fma_f16 v19, v38, v19, -v60
	v_sub_f16_e32 v36, v5, v11
	v_sub_f16_e32 v38, v23, v27
	;; [unrolled: 1-line block ×3, first 2 shown]
	v_fma_f16 v35, v35, -0.5, v12
	v_fma_f16 v24, v6, v24, v47
	v_fma_f16 v6, v6, v40, -v48
	v_sub_f16_e32 v37, v7, v9
	v_add_f16_e32 v40, v23, v30
	v_add_f16_e32 v38, v38, v39
	v_fma_f16 v39, v36, s6, v35
	v_fma_f16 v35, v36, s1, v35
	v_add_f16_e32 v32, v12, v23
	v_fma_f16 v12, v40, -0.5, v12
	v_fma_f16 v39, v37, s7, v39
	v_fma_f16 v35, v37, s0, v35
	;; [unrolled: 1-line block ×5, first 2 shown]
	v_sub_f16_e32 v40, v27, v23
	v_sub_f16_e32 v41, v25, v30
	v_fma_f16 v12, v37, s6, v12
	v_add_f16_e32 v40, v40, v41
	v_fma_f16 v12, v36, s0, v12
	v_fma_f16 v38, v36, s7, v38
	;; [unrolled: 1-line block ×3, first 2 shown]
	v_add_f16_e32 v12, v21, v5
	v_add_f16_e32 v12, v12, v7
	;; [unrolled: 1-line block ×7, first 2 shown]
	v_fma_f16 v12, v12, -0.5, v21
	v_sub_f16_e32 v23, v23, v30
	v_add_f16_e32 v32, v32, v30
	v_fma_f16 v30, v23, s1, v12
	v_sub_f16_e32 v25, v27, v25
	v_fma_f16 v38, v40, s10, v38
	v_fma_f16 v27, v25, s0, v30
	v_sub_f16_e32 v30, v5, v7
	v_sub_f16_e32 v40, v11, v9
	v_fma_f16 v12, v23, s6, v12
	v_add_f16_e32 v30, v30, v40
	v_fma_f16 v12, v25, s7, v12
	v_fma_f16 v41, v30, s10, v12
	v_add_f16_e32 v12, v5, v11
	v_fma_f16 v12, v12, -0.5, v21
	v_sub_f16_e32 v5, v7, v5
	v_sub_f16_e32 v7, v9, v11
	v_fma_f16 v21, v25, s6, v12
	v_add_f16_e32 v5, v5, v7
	v_fma_f16 v7, v25, s1, v12
	v_fma_f16 v21, v23, s0, v21
	;; [unrolled: 1-line block ×3, first 2 shown]
	v_fma_f16 v8, v8, v42, -v52
	v_fma_f16 v21, v5, s10, v21
	v_fma_f16 v42, v5, s10, v7
	v_add_f16_e32 v5, v13, v24
	v_add_f16_e32 v5, v5, v29
	;; [unrolled: 1-line block ×5, first 2 shown]
	v_fma_f16 v5, v5, -0.5, v13
	v_sub_f16_e32 v7, v6, v19
	v_fma_f16 v11, v7, s6, v5
	v_sub_f16_e32 v12, v8, v10
	v_sub_f16_e32 v23, v24, v29
	;; [unrolled: 1-line block ×3, first 2 shown]
	v_fma_f16 v5, v7, s1, v5
	v_add_f16_e32 v23, v23, v25
	v_fma_f16 v5, v12, s0, v5
	v_fma_f16 v40, v30, s10, v27
	v_fma_f16 v27, v23, s10, v5
	v_add_f16_e32 v5, v24, v31
	v_fma_f16 v11, v12, s7, v11
	v_fma_f16 v5, v5, -0.5, v13
	v_fma_f16 v11, v23, s10, v11
	v_fma_f16 v13, v12, s1, v5
	v_sub_f16_e32 v23, v29, v24
	v_sub_f16_e32 v25, v26, v31
	v_fma_f16 v5, v12, s6, v5
	v_add_f16_e32 v23, v23, v25
	v_fma_f16 v5, v7, s0, v5
	v_fma_f16 v12, v23, s10, v5
	v_add_f16_e32 v5, v4, v6
	v_add_f16_e32 v5, v5, v8
	;; [unrolled: 1-line block ×5, first 2 shown]
	v_fma_f16 v13, v7, s7, v13
	v_fma_f16 v5, v5, -0.5, v4
	v_sub_f16_e32 v7, v24, v31
	v_fma_f16 v13, v23, s10, v13
	v_fma_f16 v23, v7, s1, v5
	v_sub_f16_e32 v24, v29, v26
	v_sub_f16_e32 v25, v6, v8
	;; [unrolled: 1-line block ×3, first 2 shown]
	v_fma_f16 v5, v7, s6, v5
	v_add_f16_e32 v25, v25, v26
	v_fma_f16 v5, v24, s7, v5
	v_fma_f16 v29, v25, s10, v5
	v_add_f16_e32 v5, v6, v19
	v_fma_f16 v4, v5, -0.5, v4
	v_fma_f16 v5, v24, s6, v4
	v_sub_f16_e32 v6, v8, v6
	v_sub_f16_e32 v8, v10, v19
	v_fma_f16 v23, v24, s0, v23
	v_fma_f16 v5, v7, s0, v5
	v_add_f16_e32 v6, v6, v8
	v_fma_f16 v4, v24, s1, v4
	v_fma_f16 v23, v25, s10, v23
	;; [unrolled: 1-line block ×5, first 2 shown]
	v_mul_f16_e32 v5, 0xb8b4, v23
	s_movk_i32 s6, 0x3a79
	v_mul_f16_e32 v6, 0xbb9c, v10
	v_mul_f16_e32 v23, 0x3a79, v23
	;; [unrolled: 1-line block ×3, first 2 shown]
	v_add_f16_e32 v4, v32, v9
	v_fma_f16 v31, v11, s6, v5
	v_mul_f16_e32 v7, 0xbb9c, v24
	s_mov_b32 s6, 0xb4f2
	v_fma_f16 v46, v11, s0, v23
	v_fma_f16 v47, v13, s1, v10
	v_mul_f16_e32 v10, 0xb4f2, v24
	v_sub_f16_e32 v9, v32, v9
	v_mul_u32_u24_e32 v32, 0x208, v33
	v_mov_b32_e32 v33, 2
	v_add_f16_e32 v5, v39, v31
	v_fma_f16 v43, v13, s10, v6
	v_fma_f16 v44, v12, s6, v7
	v_mul_f16_e32 v8, 0xb8b4, v29
	s_mov_b32 s6, 0xba79
	v_add_f16_e32 v19, v37, v30
	v_add_f16_e32 v23, v40, v46
	v_fma_f16 v24, v12, s1, v10
	v_mul_f16_e32 v10, 0xba79, v29
	v_lshlrev_b32_sdwa v33, v33, v34 dst_sel:DWORD dst_unused:UNUSED_PAD src0_sel:DWORD src1_sel:BYTE_0
	v_add_f16_e32 v6, v38, v43
	v_add_f16_e32 v7, v36, v44
	v_fma_f16 v45, v27, s6, v8
	v_add_f16_e32 v25, v21, v47
	v_add_f16_e32 v26, v42, v24
	v_fma_f16 v48, v27, s0, v10
	v_add3_u32 v32, 0, v32, v33
	v_pack_b32_f16 v33, v4, v19
	v_pack_b32_f16 v34, v5, v23
	v_add_f16_e32 v8, v35, v45
	v_add_f16_e32 v27, v41, v48
	v_sub_f16_e32 v30, v37, v30
	ds_write2_b32 v32, v33, v34 offset1:13
	v_pack_b32_f16 v33, v6, v25
	v_pack_b32_f16 v34, v7, v26
	v_sub_f16_e32 v12, v39, v31
	v_sub_f16_e32 v13, v38, v43
	;; [unrolled: 1-line block ×4, first 2 shown]
	ds_write2_b32 v32, v33, v34 offset0:26 offset1:39
	v_pack_b32_f16 v33, v8, v27
	v_pack_b32_f16 v34, v9, v30
	v_sub_f16_e32 v10, v36, v44
	v_sub_f16_e32 v11, v35, v45
	;; [unrolled: 1-line block ×4, first 2 shown]
	ds_write2_b32 v32, v33, v34 offset0:52 offset1:65
	v_pack_b32_f16 v33, v12, v29
	v_pack_b32_f16 v34, v13, v31
	ds_write2_b32 v32, v33, v34 offset0:78 offset1:91
	v_pack_b32_f16 v33, v10, v21
	v_pack_b32_f16 v34, v11, v24
	ds_write2_b32 v32, v33, v34 offset0:104 offset1:117
	s_waitcnt lgkmcnt(0)
	s_barrier
	s_and_saveexec_b64 s[0:1], vcc
	s_cbranch_execnz .LBB0_16
; %bb.14:
	s_or_b64 exec, exec, s[0:1]
	s_and_saveexec_b64 s[0:1], s[4:5]
	s_cbranch_execnz .LBB0_17
.LBB0_15:
	s_endpgm
.LBB0_16:
	v_add_u32_e32 v2, 0x800, v20
	v_add_u32_e32 v3, 0x1000, v20
	;; [unrolled: 1-line block ×3, first 2 shown]
	ds_read2_b32 v[4:5], v20 offset1:130
	ds_read2_b32 v[6:7], v28 offset0:4 offset1:134
	ds_read2_b32 v[8:9], v2 offset0:8 offset1:138
	;; [unrolled: 1-line block ×5, first 2 shown]
	ds_read_b32 v15, v20 offset:6240
	s_waitcnt lgkmcnt(6)
	v_lshrrev_b32_e32 v19, 16, v4
	v_lshrrev_b32_e32 v23, 16, v5
	s_waitcnt lgkmcnt(2)
	v_lshrrev_b32_e32 v16, 16, v2
	v_lshrrev_b32_e32 v21, 16, v10
	;; [unrolled: 1-line block ×4, first 2 shown]
	s_waitcnt lgkmcnt(0)
	v_lshrrev_b32_e32 v18, 16, v15
	v_lshrrev_b32_e32 v25, 16, v6
	;; [unrolled: 1-line block ×7, first 2 shown]
	s_or_b64 exec, exec, s[0:1]
	s_and_saveexec_b64 s[0:1], s[4:5]
	s_cbranch_execz .LBB0_15
.LBB0_17:
	v_mul_u32_u24_e32 v20, 12, v14
	v_lshlrev_b32_e32 v20, 2, v20
	global_load_dwordx4 v[32:35], v20, s[8:9] offset:500
	global_load_dwordx4 v[36:39], v20, s[8:9] offset:468
	;; [unrolled: 1-line block ×3, first 2 shown]
	s_movk_i32 s14, 0x33a8
	s_mov_b32 s7, 0xb770
	s_movk_i32 s10, 0x394e
	s_mov_b32 s8, 0xba95
	;; [unrolled: 2-line block ×3, first 2 shown]
	s_mov_b32 s0, 0xbbc4
	s_movk_i32 s5, 0x3b15
	s_mov_b32 s1, 0xb9fd
	s_movk_i32 s6, 0x388b
	;; [unrolled: 2-line block ×3, first 2 shown]
	s_movk_i32 s20, 0x3a95
	s_mov_b32 s15, 0xb3a8
	s_mov_b32 s17, 0xb94e
	s_movk_i32 s21, 0x3770
	s_mov_b32 s18, 0xbb7b
	s_waitcnt vmcnt(2)
	v_mul_f16_sdwa v20, v15, v35 dst_sel:DWORD dst_unused:UNUSED_PAD src0_sel:DWORD src1_sel:WORD_1
	s_waitcnt vmcnt(1)
	v_mul_f16_sdwa v22, v5, v36 dst_sel:DWORD dst_unused:UNUSED_PAD src0_sel:DWORD src1_sel:WORD_1
	v_mul_f16_sdwa v28, v23, v36 dst_sel:DWORD dst_unused:UNUSED_PAD src0_sel:DWORD src1_sel:WORD_1
	;; [unrolled: 1-line block ×7, first 2 shown]
	s_waitcnt vmcnt(0)
	v_mul_f16_sdwa v58, v9, v40 dst_sel:DWORD dst_unused:UNUSED_PAD src0_sel:DWORD src1_sel:WORD_1
	v_fma_f16 v18, v18, v35, -v20
	v_fma_f16 v20, v23, v36, -v22
	v_mul_f16_sdwa v47, v25, v37 dst_sel:DWORD dst_unused:UNUSED_PAD src0_sel:DWORD src1_sel:WORD_1
	v_mul_f16_sdwa v48, v17, v34 dst_sel:DWORD dst_unused:UNUSED_PAD src0_sel:DWORD src1_sel:WORD_1
	;; [unrolled: 1-line block ×10, first 2 shown]
	v_fma_f16 v5, v5, v36, v28
	v_fma_f16 v15, v15, v35, v44
	v_fma_f16 v17, v17, v34, -v45
	v_fma_f16 v22, v25, v37, -v46
	;; [unrolled: 1-line block ×5, first 2 shown]
	v_add_f16_e32 v30, v18, v20
	v_mul_f16_sdwa v52, v16, v33 dst_sel:DWORD dst_unused:UNUSED_PAD src0_sel:DWORD src1_sel:WORD_1
	v_mul_f16_sdwa v57, v10, v43 dst_sel:DWORD dst_unused:UNUSED_PAD src0_sel:DWORD src1_sel:WORD_1
	;; [unrolled: 1-line block ×3, first 2 shown]
	v_fma_f16 v6, v6, v37, v47
	v_fma_f16 v3, v3, v34, v48
	v_fma_f16 v16, v16, v33, -v49
	v_fma_f16 v24, v24, v32, -v53
	v_fma_f16 v11, v11, v32, v56
	v_fma_f16 v28, v31, v42, -v61
	v_fma_f16 v13, v13, v42, v64
	v_sub_f16_e32 v31, v5, v15
	v_add_f16_e32 v32, v17, v22
	v_mul_f16_e32 v42, 0xbbc4, v30
	v_fma_f16 v7, v7, v38, v51
	v_fma_f16 v25, v2, v33, v52
	v_fma_f16 v21, v21, v43, -v57
	v_fma_f16 v10, v10, v43, v60
	v_sub_f16_e32 v33, v6, v3
	v_add_f16_e32 v34, v16, v23
	v_mul_f16_e32 v43, 0x3b15, v32
	v_fma_f16 v2, v31, s14, v42
	v_mul_f16_sdwa v62, v12, v41 dst_sel:DWORD dst_unused:UNUSED_PAD src0_sel:DWORD src1_sel:WORD_1
	v_fma_f16 v8, v8, v39, v55
	v_sub_f16_e32 v35, v7, v25
	v_add_f16_e32 v36, v24, v26
	v_mul_f16_e32 v44, 0xb9fd, v34
	v_fma_f16 v48, v33, s7, v43
	v_add_f16_e32 v2, v19, v2
	v_mul_f16_sdwa v63, v29, v41 dst_sel:DWORD dst_unused:UNUSED_PAD src0_sel:DWORD src1_sel:WORD_1
	v_fma_f16 v9, v9, v40, v59
	v_fma_f16 v29, v29, v41, -v62
	v_sub_f16_e32 v37, v8, v11
	v_add_f16_e32 v38, v21, v27
	v_mul_f16_e32 v45, 0x388b, v36
	v_fma_f16 v49, v35, s10, v44
	v_add_f16_e32 v2, v2, v48
	v_fma_f16 v12, v12, v41, v63
	v_sub_f16_e32 v39, v9, v10
	v_add_f16_e32 v40, v28, v29
	v_mul_f16_e32 v46, 0xb5ac, v38
	v_fma_f16 v50, v37, s8, v45
	v_add_f16_e32 v2, v2, v49
	v_sub_f16_e32 v41, v12, v13
	v_mul_f16_e32 v47, 0x2fb7, v40
	v_fma_f16 v51, v39, s11, v46
	v_add_f16_e32 v2, v2, v50
	v_add_f16_e32 v2, v2, v51
	v_fma_f16 v48, v41, s16, v47
	v_sub_f16_e32 v49, v20, v18
	v_add_f16_e32 v2, v2, v48
	v_add_f16_e32 v48, v15, v5
	v_mul_f16_e32 v50, 0xb3a8, v49
	v_sub_f16_e32 v53, v22, v17
	v_fma_f16 v51, v48, s0, v50
	v_add_f16_e32 v52, v3, v6
	v_mul_f16_e32 v54, 0x3770, v53
	v_add_f16_e32 v51, v4, v51
	v_fma_f16 v55, v52, s5, v54
	v_sub_f16_e32 v56, v23, v16
	v_add_f16_e32 v51, v51, v55
	v_add_f16_e32 v55, v25, v7
	v_mul_f16_e32 v57, 0xb94e, v56
	v_fma_f16 v58, v55, s1, v57
	v_sub_f16_e32 v59, v26, v24
	v_add_f16_e32 v51, v51, v58
	v_add_f16_e32 v58, v11, v8
	v_mul_f16_e32 v60, 0x3a95, v59
	;; [unrolled: 5-line block ×4, first 2 shown]
	v_fma_f16 v67, v64, s9, v66
	v_add_f16_e32 v51, v51, v67
	v_mul_f16_e32 v67, 0xb9fd, v30
	v_fma_f16 v68, v31, s10, v67
	v_mul_f16_e32 v69, 0x2fb7, v32
	v_add_f16_e32 v68, v19, v68
	v_fma_f16 v70, v33, s16, v69
	v_add_f16_e32 v68, v68, v70
	v_mul_f16_e32 v70, 0x388b, v34
	v_fma_f16 v71, v35, s20, v70
	v_add_f16_e32 v68, v68, v71
	v_mul_f16_e32 v71, 0xbbc4, v36
	v_fma_f16 v72, v37, s15, v71
	v_add_f16_e32 v5, v4, v5
	v_add_f16_e32 v68, v68, v72
	v_mul_f16_e32 v72, 0x3b15, v38
	v_add_f16_e32 v5, v5, v6
	v_fma_f16 v73, v39, s7, v72
	v_add_f16_e32 v5, v5, v7
	v_add_f16_e32 v68, v68, v73
	v_mul_f16_e32 v73, 0xb5ac, v40
	v_add_f16_e32 v5, v5, v8
	;; [unrolled: 5-line block ×3, first 2 shown]
	v_fma_f16 v75, v48, s1, v74
	v_mul_f16_e32 v76, 0x3bf1, v53
	v_add_f16_e32 v5, v13, v5
	v_add_f16_e32 v75, v4, v75
	v_fma_f16 v77, v52, s9, v76
	v_add_f16_e32 v5, v10, v5
	v_add_f16_e32 v75, v75, v77
	v_mul_f16_e32 v77, 0xba95, v56
	v_add_f16_e32 v5, v11, v5
	v_fma_f16 v78, v55, s6, v77
	v_add_f16_e32 v5, v25, v5
	v_add_f16_e32 v75, v75, v78
	v_mul_f16_e32 v78, 0x33a8, v59
	v_add_f16_e32 v3, v3, v5
	v_fma_f16 v79, v58, s0, v78
	v_add_f16_e32 v6, v15, v3
	v_add_f16_e32 v3, v19, v20
	;; [unrolled: 1-line block ×3, first 2 shown]
	v_mul_f16_e32 v79, 0x3770, v62
	v_add_f16_e32 v3, v3, v22
	v_fma_f16 v80, v61, s5, v79
	v_add_f16_e32 v3, v3, v23
	v_add_f16_e32 v75, v75, v80
	v_mul_f16_e32 v80, 0xbb7b, v65
	v_add_f16_e32 v3, v3, v26
	v_fma_f16 v81, v64, s4, v80
	v_add_f16_e32 v3, v3, v27
	v_add_f16_e32 v75, v75, v81
	v_mul_f16_e32 v81, 0xb5ac, v30
	v_add_f16_e32 v3, v3, v29
	v_fma_f16 v82, v31, s11, v81
	v_mul_f16_e32 v83, 0xb9fd, v32
	v_add_f16_e32 v3, v28, v3
	v_add_f16_e32 v82, v19, v82
	v_fma_f16 v84, v33, s17, v83
	v_add_f16_e32 v3, v21, v3
	v_add_f16_e32 v82, v82, v84
	v_mul_f16_e32 v84, 0x3b15, v34
	v_add_f16_e32 v3, v24, v3
	v_fma_f16 v85, v35, s7, v84
	v_add_f16_e32 v3, v16, v3
	v_add_f16_e32 v82, v82, v85
	v_mul_f16_e32 v85, 0x2fb7, v36
	v_add_f16_e32 v3, v17, v3
	v_fma_f16 v86, v37, s19, v85
	v_add_f16_e32 v7, v18, v3
	v_fma_f16 v3, v31, s15, v42
	v_add_f16_e32 v82, v82, v86
	v_mul_f16_e32 v86, 0xbbc4, v38
	v_add_f16_e32 v3, v19, v3
	v_fma_f16 v5, v33, s21, v43
	v_fma_f16 v87, v39, s15, v86
	v_add_f16_e32 v3, v3, v5
	v_fma_f16 v5, v35, s17, v44
	v_add_f16_e32 v82, v82, v87
	v_mul_f16_e32 v87, 0x388b, v40
	v_add_f16_e32 v3, v3, v5
	v_fma_f16 v5, v37, s20, v45
	;; [unrolled: 7-line block ×3, first 2 shown]
	v_fma_f16 v89, v48, s4, v88
	v_mul_f16_e32 v90, 0x394e, v53
	v_add_f16_e32 v8, v3, v5
	v_fma_f16 v3, v48, s0, -v50
	v_add_f16_e32 v89, v4, v89
	v_fma_f16 v91, v52, s1, v90
	v_add_f16_e32 v3, v4, v3
	v_fma_f16 v5, v52, s5, -v54
	v_add_f16_e32 v89, v89, v91
	v_mul_f16_e32 v91, 0x3770, v56
	v_add_f16_e32 v3, v3, v5
	v_fma_f16 v5, v55, s1, -v57
	v_fma_f16 v92, v55, s5, v91
	v_add_f16_e32 v3, v3, v5
	v_fma_f16 v5, v58, s6, -v60
	v_add_f16_e32 v89, v89, v92
	v_mul_f16_e32 v92, 0xbbf1, v59
	v_add_f16_e32 v3, v3, v5
	v_fma_f16 v5, v61, s4, -v63
	v_fma_f16 v93, v58, s9, v92
	v_add_f16_e32 v3, v3, v5
	v_fma_f16 v5, v64, s9, -v66
	v_add_f16_e32 v89, v89, v93
	v_mul_f16_e32 v93, 0x33a8, v62
	v_add_f16_e32 v9, v3, v5
	v_fma_f16 v3, v31, s17, v67
	v_fma_f16 v94, v61, s0, v93
	v_add_f16_e32 v3, v19, v3
	v_fma_f16 v5, v33, s19, v69
	v_add_f16_e32 v89, v89, v94
	v_mul_f16_e32 v94, 0x3a95, v65
	v_add_f16_e32 v3, v3, v5
	v_fma_f16 v5, v35, s8, v70
	v_fma_f16 v95, v64, s6, v94
	v_add_f16_e32 v3, v3, v5
	v_fma_f16 v5, v37, s14, v71
	v_add_f16_e32 v89, v89, v95
	v_mul_f16_e32 v95, 0x2fb7, v30
	v_add_f16_e32 v3, v3, v5
	v_fma_f16 v5, v39, s21, v72
	v_fma_f16 v96, v31, s19, v95
	v_mul_f16_e32 v97, 0xbbc4, v32
	v_add_f16_e32 v3, v3, v5
	v_fma_f16 v5, v41, s18, v73
	v_add_f16_e32 v96, v19, v96
	v_fma_f16 v98, v33, s14, v97
	v_add_f16_e32 v10, v3, v5
	v_fma_f16 v3, v48, s1, -v74
	v_add_f16_e32 v96, v96, v98
	v_mul_f16_e32 v98, 0xb5ac, v34
	v_add_f16_e32 v3, v4, v3
	v_fma_f16 v5, v52, s9, -v76
	v_fma_f16 v99, v35, s18, v98
	v_add_f16_e32 v3, v3, v5
	v_fma_f16 v5, v55, s6, -v77
	v_add_f16_e32 v96, v96, v99
	v_mul_f16_e32 v99, 0x3b15, v36
	v_add_f16_e32 v3, v3, v5
	v_fma_f16 v5, v58, s0, -v78
	;; [unrolled: 7-line block ×3, first 2 shown]
	v_fma_f16 v101, v39, s20, v100
	v_add_f16_e32 v11, v3, v5
	v_fma_f16 v3, v31, s18, v81
	v_add_f16_e32 v96, v96, v101
	v_mul_f16_e32 v101, 0xb9fd, v40
	v_add_f16_e32 v3, v19, v3
	v_fma_f16 v5, v33, s10, v83
	v_fma_f16 v102, v41, s10, v101
	v_add_f16_e32 v3, v3, v5
	v_fma_f16 v5, v35, s21, v84
	v_add_f16_e32 v96, v96, v102
	v_mul_f16_e32 v102, 0xbbf1, v49
	v_add_f16_e32 v3, v3, v5
	v_fma_f16 v5, v37, s16, v85
	v_fma_f16 v103, v48, s9, v102
	v_mul_f16_e32 v104, 0xb3a8, v53
	v_add_f16_e32 v3, v3, v5
	v_fma_f16 v5, v39, s14, v86
	v_add_f16_e32 v103, v4, v103
	v_fma_f16 v105, v52, s0, v104
	;; [unrolled: 2-line block ×3, first 2 shown]
	v_add_f16_e32 v103, v103, v105
	v_mul_f16_e32 v105, 0x3b7b, v56
	v_add_f16_e32 v12, v3, v5
	v_fma_f16 v3, v48, s4, -v88
	v_fma_f16 v106, v55, s4, v105
	v_add_f16_e32 v3, v4, v3
	v_fma_f16 v5, v52, s1, -v90
	v_add_f16_e32 v103, v103, v106
	v_mul_f16_e32 v106, 0x3770, v59
	v_add_f16_e32 v3, v3, v5
	v_fma_f16 v5, v55, s5, -v91
	v_fma_f16 v107, v58, s5, v106
	v_add_f16_e32 v3, v3, v5
	v_fma_f16 v5, v58, s9, -v92
	;; [unrolled: 7-line block ×3, first 2 shown]
	v_add_f16_e32 v103, v103, v108
	v_mul_f16_e32 v108, 0xb94e, v65
	v_add_f16_e32 v13, v3, v5
	v_fma_f16 v3, v31, s16, v95
	v_fma_f16 v109, v64, s1, v108
	v_add_f16_e32 v3, v19, v3
	v_fma_f16 v5, v33, s15, v97
	v_add_f16_e32 v103, v103, v109
	v_mul_f16_e32 v109, 0x388b, v30
	v_add_f16_e32 v3, v3, v5
	v_fma_f16 v5, v35, s11, v98
	v_fma_f16 v110, v31, s20, v109
	v_mul_f16_e32 v111, 0xb5ac, v32
	v_add_f16_e32 v3, v3, v5
	v_fma_f16 v5, v37, s21, v99
	v_add_f16_e32 v110, v19, v110
	v_fma_f16 v112, v33, s11, v111
	;; [unrolled: 2-line block ×3, first 2 shown]
	v_add_f16_e32 v110, v110, v112
	v_mul_f16_e32 v112, 0xbbc4, v34
	v_add_f16_e32 v3, v3, v5
	v_fma_f16 v5, v41, s17, v101
	v_fma_f16 v113, v35, s14, v112
	v_add_f16_e32 v15, v3, v5
	v_fma_f16 v3, v48, s9, -v102
	v_add_f16_e32 v110, v110, v113
	v_mul_f16_e32 v113, 0xb9fd, v36
	v_add_f16_e32 v3, v4, v3
	v_fma_f16 v5, v52, s0, -v104
	v_fma_f16 v114, v37, s17, v113
	v_add_f16_e32 v3, v3, v5
	v_fma_f16 v5, v55, s4, -v105
	v_add_f16_e32 v110, v110, v114
	v_mul_f16_e32 v114, 0x2fb7, v38
	v_add_f16_e32 v3, v3, v5
	v_fma_f16 v5, v58, s5, -v106
	;; [unrolled: 7-line block ×3, first 2 shown]
	v_fma_f16 v116, v41, s7, v115
	v_add_f16_e32 v16, v3, v5
	v_fma_f16 v3, v31, s8, v109
	v_add_f16_e32 v110, v110, v116
	v_mul_f16_e32 v116, 0xba95, v49
	v_add_f16_e32 v3, v19, v3
	v_fma_f16 v5, v33, s18, v111
	v_fma_f16 v117, v48, s6, v116
	v_mul_f16_e32 v118, 0xbb7b, v53
	v_add_f16_e32 v3, v3, v5
	v_fma_f16 v5, v35, s15, v112
	v_add_f16_e32 v117, v4, v117
	v_fma_f16 v119, v52, s4, v118
	;; [unrolled: 2-line block ×3, first 2 shown]
	v_add_f16_e32 v117, v117, v119
	v_mul_f16_e32 v119, 0xb3a8, v56
	v_add_f16_e32 v3, v3, v5
	v_fma_f16 v5, v39, s19, v114
	v_fma_f16 v120, v55, s0, v119
	v_add_f16_e32 v3, v3, v5
	v_fma_f16 v5, v41, s21, v115
	v_add_f16_e32 v117, v117, v120
	v_mul_f16_e32 v120, 0x394e, v59
	v_add_f16_e32 v17, v3, v5
	v_fma_f16 v3, v48, s6, -v116
	v_fma_f16 v121, v58, s1, v120
	v_add_f16_e32 v3, v4, v3
	v_fma_f16 v5, v52, s4, -v118
	v_add_f16_e32 v117, v117, v121
	v_mul_f16_e32 v121, 0x3bf1, v62
	v_add_f16_e32 v3, v3, v5
	v_fma_f16 v5, v55, s0, -v119
	v_fma_f16 v122, v61, s9, v121
	v_add_f16_e32 v3, v3, v5
	v_fma_f16 v5, v58, s1, -v120
	v_add_f16_e32 v117, v117, v122
	v_mul_f16_e32 v122, 0x3770, v65
	v_add_f16_e32 v3, v3, v5
	v_fma_f16 v5, v61, s9, -v121
	v_fma_f16 v123, v64, s5, v122
	v_mul_f16_e32 v30, 0x3b15, v30
	v_add_f16_e32 v3, v3, v5
	v_fma_f16 v5, v64, s5, -v122
	v_add_f16_e32 v117, v117, v123
	v_fma_f16 v123, v31, s21, v30
	v_mul_f16_e32 v32, 0x388b, v32
	v_add_f16_e32 v18, v3, v5
	v_fma_f16 v3, v31, s7, v30
	v_add_f16_e32 v123, v19, v123
	v_fma_f16 v124, v33, s20, v32
	v_mul_f16_e32 v34, 0x2fb7, v34
	v_add_f16_e32 v3, v19, v3
	v_fma_f16 v5, v33, s8, v32
	;; [unrolled: 5-line block ×6, first 2 shown]
	v_add_f16_e32 v123, v123, v124
	v_fma_f16 v124, v48, s5, v49
	v_mul_f16_e32 v53, 0xba95, v53
	v_add_f16_e32 v19, v3, v5
	v_fma_f16 v3, v48, s5, -v49
	v_add_f16_e32 v124, v4, v124
	v_mul_f16_e32 v56, 0xbbf1, v56
	v_add_f16_e32 v3, v4, v3
	v_fma_f16 v4, v52, s6, -v53
	v_add_f16_e32 v3, v3, v4
	v_fma_f16 v4, v55, s9, -v56
	v_fma_f16 v125, v52, s6, v53
	v_add_f16_e32 v5, v3, v4
	v_mad_u64_u32 v[3:4], s[6:7], s2, v14, 0
	v_mul_f16_e32 v59, 0xbb7b, v59
	v_add_f16_e32 v124, v124, v125
	v_fma_f16 v125, v55, s9, v56
	v_mul_f16_e32 v62, 0xb94e, v62
	v_fma_f16 v20, v58, s4, -v59
	v_add_f16_e32 v124, v124, v125
	v_fma_f16 v125, v58, s4, v59
	v_mul_f16_e32 v65, 0xb3a8, v65
	v_add_f16_e32 v20, v5, v20
	v_fma_f16 v21, v61, s1, -v62
	v_mad_u64_u32 v[4:5], s[4:5], s3, v14, v[4:5]
	v_add_f16_e32 v5, v20, v21
	v_fma_f16 v20, v64, s0, -v65
	v_add_f16_e32 v20, v5, v20
	v_mov_b32_e32 v5, s13
	v_add_co_u32_e32 v21, vcc, s12, v0
	v_add_f16_e32 v124, v124, v125
	v_fma_f16 v125, v61, s1, v62
	v_addc_co_u32_e32 v22, vcc, v5, v1, vcc
	v_add_u32_e32 v5, 0x82, v14
	v_add_f16_e32 v124, v124, v125
	v_fma_f16 v125, v64, s0, v65
	v_lshlrev_b64 v[0:1], 2, v[3:4]
	v_mad_u64_u32 v[3:4], s[0:1], s2, v5, 0
	v_add_u32_e32 v23, 0x104, v14
	v_pack_b32_f16 v7, v6, v7
	v_mad_u64_u32 v[4:5], s[0:1], s3, v5, v[4:5]
	v_mad_u64_u32 v[5:6], s[0:1], s2, v23, 0
	v_add_co_u32_e32 v0, vcc, v21, v0
	v_addc_co_u32_e32 v1, vcc, v22, v1, vcc
	global_store_dword v[0:1], v7, off
	v_lshlrev_b64 v[0:1], 2, v[3:4]
	v_mov_b32_e32 v3, v6
	v_mad_u64_u32 v[3:4], s[0:1], s3, v23, v[3:4]
	v_add_f16_e32 v124, v124, v125
	v_add_co_u32_e32 v0, vcc, v21, v0
	v_addc_co_u32_e32 v1, vcc, v22, v1, vcc
	v_pack_b32_f16 v4, v124, v123
	v_mov_b32_e32 v6, v3
	global_store_dword v[0:1], v4, off
	v_lshlrev_b64 v[0:1], 2, v[5:6]
	v_add_u32_e32 v5, 0x186, v14
	v_mad_u64_u32 v[3:4], s[0:1], s2, v5, 0
	v_add_u32_e32 v23, 0x208, v14
	v_add_co_u32_e32 v0, vcc, v21, v0
	v_mad_u64_u32 v[4:5], s[0:1], s3, v5, v[4:5]
	v_mad_u64_u32 v[5:6], s[0:1], s2, v23, 0
	v_addc_co_u32_e32 v1, vcc, v22, v1, vcc
	v_pack_b32_f16 v7, v117, v110
	global_store_dword v[0:1], v7, off
	v_lshlrev_b64 v[0:1], 2, v[3:4]
	v_mov_b32_e32 v3, v6
	v_mad_u64_u32 v[3:4], s[0:1], s3, v23, v[3:4]
	v_add_co_u32_e32 v0, vcc, v21, v0
	v_addc_co_u32_e32 v1, vcc, v22, v1, vcc
	v_pack_b32_f16 v4, v103, v96
	v_mov_b32_e32 v6, v3
	global_store_dword v[0:1], v4, off
	v_lshlrev_b64 v[0:1], 2, v[5:6]
	v_add_u32_e32 v5, 0x28a, v14
	v_mad_u64_u32 v[3:4], s[0:1], s2, v5, 0
	v_add_u32_e32 v23, 0x30c, v14
	v_add_co_u32_e32 v0, vcc, v21, v0
	v_mad_u64_u32 v[4:5], s[0:1], s3, v5, v[4:5]
	v_mad_u64_u32 v[5:6], s[0:1], s2, v23, 0
	v_addc_co_u32_e32 v1, vcc, v22, v1, vcc
	v_pack_b32_f16 v7, v89, v82
	global_store_dword v[0:1], v7, off
	v_lshlrev_b64 v[0:1], 2, v[3:4]
	v_mov_b32_e32 v3, v6
	v_mad_u64_u32 v[3:4], s[0:1], s3, v23, v[3:4]
	v_add_co_u32_e32 v0, vcc, v21, v0
	v_addc_co_u32_e32 v1, vcc, v22, v1, vcc
	v_pack_b32_f16 v4, v75, v68
	v_mov_b32_e32 v6, v3
	global_store_dword v[0:1], v4, off
	v_lshlrev_b64 v[0:1], 2, v[5:6]
	v_add_u32_e32 v5, 0x38e, v14
	v_mad_u64_u32 v[3:4], s[0:1], s2, v5, 0
	v_pack_b32_f16 v7, v51, v2
	v_add_u32_e32 v23, 0x410, v14
	v_mov_b32_e32 v2, v4
	v_mad_u64_u32 v[4:5], s[0:1], s3, v5, v[2:3]
	v_mad_u64_u32 v[5:6], s[0:1], s2, v23, 0
	v_add_co_u32_e32 v0, vcc, v21, v0
	v_addc_co_u32_e32 v1, vcc, v22, v1, vcc
	v_mov_b32_e32 v2, v6
	global_store_dword v[0:1], v7, off
	v_lshlrev_b64 v[0:1], 2, v[3:4]
	v_mad_u64_u32 v[2:3], s[0:1], s3, v23, v[2:3]
	v_add_co_u32_e32 v0, vcc, v21, v0
	v_addc_co_u32_e32 v1, vcc, v22, v1, vcc
	v_pack_b32_f16 v3, v9, v8
	v_add_u32_e32 v4, 0x492, v14
	global_store_dword v[0:1], v3, off
	v_mov_b32_e32 v6, v2
	v_mad_u64_u32 v[2:3], s[0:1], s2, v4, 0
	v_add_u32_e32 v7, 0x514, v14
	v_lshlrev_b64 v[0:1], 2, v[5:6]
	v_mad_u64_u32 v[3:4], s[0:1], s3, v4, v[3:4]
	v_mad_u64_u32 v[4:5], s[0:1], s2, v7, 0
	v_add_co_u32_e32 v0, vcc, v21, v0
	v_addc_co_u32_e32 v1, vcc, v22, v1, vcc
	v_pack_b32_f16 v6, v11, v10
	global_store_dword v[0:1], v6, off
	v_lshlrev_b64 v[0:1], 2, v[2:3]
	v_mov_b32_e32 v2, v5
	v_mad_u64_u32 v[2:3], s[0:1], s3, v7, v[2:3]
	v_add_co_u32_e32 v0, vcc, v21, v0
	v_addc_co_u32_e32 v1, vcc, v22, v1, vcc
	v_pack_b32_f16 v3, v13, v12
	v_mov_b32_e32 v5, v2
	global_store_dword v[0:1], v3, off
	v_lshlrev_b64 v[0:1], 2, v[4:5]
	v_add_u32_e32 v4, 0x596, v14
	v_mad_u64_u32 v[2:3], s[0:1], s2, v4, 0
	v_add_u32_e32 v7, 0x618, v14
	v_add_co_u32_e32 v0, vcc, v21, v0
	v_mad_u64_u32 v[3:4], s[0:1], s3, v4, v[3:4]
	v_mad_u64_u32 v[4:5], s[0:1], s2, v7, 0
	v_addc_co_u32_e32 v1, vcc, v22, v1, vcc
	v_pack_b32_f16 v6, v16, v15
	global_store_dword v[0:1], v6, off
	v_lshlrev_b64 v[0:1], 2, v[2:3]
	v_mov_b32_e32 v2, v5
	v_mad_u64_u32 v[2:3], s[0:1], s3, v7, v[2:3]
	v_add_co_u32_e32 v0, vcc, v21, v0
	v_addc_co_u32_e32 v1, vcc, v22, v1, vcc
	v_pack_b32_f16 v3, v18, v17
	v_mov_b32_e32 v5, v2
	global_store_dword v[0:1], v3, off
	v_lshlrev_b64 v[0:1], 2, v[4:5]
	v_pack_b32_f16 v2, v20, v19
	v_add_co_u32_e32 v0, vcc, v21, v0
	v_addc_co_u32_e32 v1, vcc, v22, v1, vcc
	global_store_dword v[0:1], v2, off
	s_endpgm
	.section	.rodata,"a",@progbits
	.p2align	6, 0x0
	.amdhsa_kernel fft_rtc_back_len1690_factors_13_10_13_wgs_169_tpt_169_half_ip_CI_sbrr_dirReg
		.amdhsa_group_segment_fixed_size 0
		.amdhsa_private_segment_fixed_size 0
		.amdhsa_kernarg_size 88
		.amdhsa_user_sgpr_count 6
		.amdhsa_user_sgpr_private_segment_buffer 1
		.amdhsa_user_sgpr_dispatch_ptr 0
		.amdhsa_user_sgpr_queue_ptr 0
		.amdhsa_user_sgpr_kernarg_segment_ptr 1
		.amdhsa_user_sgpr_dispatch_id 0
		.amdhsa_user_sgpr_flat_scratch_init 0
		.amdhsa_user_sgpr_private_segment_size 0
		.amdhsa_uses_dynamic_stack 0
		.amdhsa_system_sgpr_private_segment_wavefront_offset 0
		.amdhsa_system_sgpr_workgroup_id_x 1
		.amdhsa_system_sgpr_workgroup_id_y 0
		.amdhsa_system_sgpr_workgroup_id_z 0
		.amdhsa_system_sgpr_workgroup_info 0
		.amdhsa_system_vgpr_workitem_id 0
		.amdhsa_next_free_vgpr 126
		.amdhsa_next_free_sgpr 24
		.amdhsa_reserve_vcc 1
		.amdhsa_reserve_flat_scratch 0
		.amdhsa_float_round_mode_32 0
		.amdhsa_float_round_mode_16_64 0
		.amdhsa_float_denorm_mode_32 3
		.amdhsa_float_denorm_mode_16_64 3
		.amdhsa_dx10_clamp 1
		.amdhsa_ieee_mode 1
		.amdhsa_fp16_overflow 0
		.amdhsa_exception_fp_ieee_invalid_op 0
		.amdhsa_exception_fp_denorm_src 0
		.amdhsa_exception_fp_ieee_div_zero 0
		.amdhsa_exception_fp_ieee_overflow 0
		.amdhsa_exception_fp_ieee_underflow 0
		.amdhsa_exception_fp_ieee_inexact 0
		.amdhsa_exception_int_div_zero 0
	.end_amdhsa_kernel
	.text
.Lfunc_end0:
	.size	fft_rtc_back_len1690_factors_13_10_13_wgs_169_tpt_169_half_ip_CI_sbrr_dirReg, .Lfunc_end0-fft_rtc_back_len1690_factors_13_10_13_wgs_169_tpt_169_half_ip_CI_sbrr_dirReg
                                        ; -- End function
	.section	.AMDGPU.csdata,"",@progbits
; Kernel info:
; codeLenInByte = 10684
; NumSgprs: 28
; NumVgprs: 126
; ScratchSize: 0
; MemoryBound: 0
; FloatMode: 240
; IeeeMode: 1
; LDSByteSize: 0 bytes/workgroup (compile time only)
; SGPRBlocks: 3
; VGPRBlocks: 31
; NumSGPRsForWavesPerEU: 28
; NumVGPRsForWavesPerEU: 126
; Occupancy: 2
; WaveLimiterHint : 1
; COMPUTE_PGM_RSRC2:SCRATCH_EN: 0
; COMPUTE_PGM_RSRC2:USER_SGPR: 6
; COMPUTE_PGM_RSRC2:TRAP_HANDLER: 0
; COMPUTE_PGM_RSRC2:TGID_X_EN: 1
; COMPUTE_PGM_RSRC2:TGID_Y_EN: 0
; COMPUTE_PGM_RSRC2:TGID_Z_EN: 0
; COMPUTE_PGM_RSRC2:TIDIG_COMP_CNT: 0
	.type	__hip_cuid_57dc0286c3c062c,@object ; @__hip_cuid_57dc0286c3c062c
	.section	.bss,"aw",@nobits
	.globl	__hip_cuid_57dc0286c3c062c
__hip_cuid_57dc0286c3c062c:
	.byte	0                               ; 0x0
	.size	__hip_cuid_57dc0286c3c062c, 1

	.ident	"AMD clang version 19.0.0git (https://github.com/RadeonOpenCompute/llvm-project roc-6.4.0 25133 c7fe45cf4b819c5991fe208aaa96edf142730f1d)"
	.section	".note.GNU-stack","",@progbits
	.addrsig
	.addrsig_sym __hip_cuid_57dc0286c3c062c
	.amdgpu_metadata
---
amdhsa.kernels:
  - .args:
      - .actual_access:  read_only
        .address_space:  global
        .offset:         0
        .size:           8
        .value_kind:     global_buffer
      - .offset:         8
        .size:           8
        .value_kind:     by_value
      - .actual_access:  read_only
        .address_space:  global
        .offset:         16
        .size:           8
        .value_kind:     global_buffer
      - .actual_access:  read_only
        .address_space:  global
        .offset:         24
        .size:           8
        .value_kind:     global_buffer
      - .offset:         32
        .size:           8
        .value_kind:     by_value
      - .actual_access:  read_only
        .address_space:  global
        .offset:         40
        .size:           8
        .value_kind:     global_buffer
      - .actual_access:  read_only
        .address_space:  global
        .offset:         48
        .size:           8
        .value_kind:     global_buffer
      - .offset:         56
        .size:           4
        .value_kind:     by_value
      - .actual_access:  read_only
        .address_space:  global
        .offset:         64
        .size:           8
        .value_kind:     global_buffer
      - .actual_access:  read_only
        .address_space:  global
        .offset:         72
        .size:           8
        .value_kind:     global_buffer
      - .address_space:  global
        .offset:         80
        .size:           8
        .value_kind:     global_buffer
    .group_segment_fixed_size: 0
    .kernarg_segment_align: 8
    .kernarg_segment_size: 88
    .language:       OpenCL C
    .language_version:
      - 2
      - 0
    .max_flat_workgroup_size: 169
    .name:           fft_rtc_back_len1690_factors_13_10_13_wgs_169_tpt_169_half_ip_CI_sbrr_dirReg
    .private_segment_fixed_size: 0
    .sgpr_count:     28
    .sgpr_spill_count: 0
    .symbol:         fft_rtc_back_len1690_factors_13_10_13_wgs_169_tpt_169_half_ip_CI_sbrr_dirReg.kd
    .uniform_work_group_size: 1
    .uses_dynamic_stack: false
    .vgpr_count:     126
    .vgpr_spill_count: 0
    .wavefront_size: 64
amdhsa.target:   amdgcn-amd-amdhsa--gfx906
amdhsa.version:
  - 1
  - 2
...

	.end_amdgpu_metadata
